;; amdgpu-corpus repo=zjin-lcf/HeCBench kind=compiled arch=gfx906 opt=O3
	.amdgcn_target "amdgcn-amd-amdhsa--gfx906"
	.amdhsa_code_object_version 6
	.text
	.protected	_Z4evalPKfPfmi          ; -- Begin function _Z4evalPKfPfmi
	.globl	_Z4evalPKfPfmi
	.p2align	8
	.type	_Z4evalPKfPfmi,@function
_Z4evalPKfPfmi:                         ; @_Z4evalPKfPfmi
; %bb.0:
	s_load_dword s2, s[4:5], 0x2c
	s_load_dwordx2 s[0:1], s[4:5], 0x10
	v_mov_b32_e32 v4, 0
	s_waitcnt lgkmcnt(0)
	s_and_b32 s2, s2, 0xffff
	s_mul_i32 s6, s6, s2
	v_add_u32_e32 v3, s6, v0
	v_cmp_gt_u64_e32 vcc, s[0:1], v[3:4]
	s_and_saveexec_b64 s[0:1], vcc
	s_cbranch_execz .LBB0_17
; %bb.1:
	s_load_dword s12, s[4:5], 0x18
	s_load_dwordx4 s[8:11], s[4:5], 0x0
	s_waitcnt lgkmcnt(0)
	s_cmp_lt_i32 s12, 1
	s_cbranch_scc1 .LBB0_12
; %bb.2:
	v_mad_u64_u32 v[0:1], s[0:1], v3, s12, 0
	s_ashr_i32 s0, s12, 31
	s_brev_b32 s13, 18
	v_mad_u64_u32 v[1:2], s[0:1], v3, s0, v[1:2]
	v_mov_b32_e32 v2, s9
	v_mov_b32_e32 v3, 0
	v_lshlrev_b64 v[0:1], 2, v[0:1]
	s_brev_b32 s9, -2
	v_add_co_u32_e32 v0, vcc, s8, v0
	v_addc_co_u32_e32 v1, vcc, v2, v1, vcc
	s_mov_b32 s8, 0
	s_mov_b32 s14, 0xfe5163ab
	;; [unrolled: 1-line block ×12, first 2 shown]
	v_mov_b32_e32 v5, 0xbe2aaa9d
	v_mov_b32_e32 v6, 0x3d2aabf7
	;; [unrolled: 1-line block ×3, first 2 shown]
	s_movk_i32 s25, 0x1f8
	s_mov_b32 s26, 0x3f2aaaab
	s_mov_b32 s27, 0x3f317218
	s_movk_i32 s28, 0x204
	s_mov_b32 s29, 0x7f800000
	s_mov_b32 s30, 0x42b17218
	;; [unrolled: 1-line block ×4, first 2 shown]
	v_not_b32_e32 v8, 63
	v_not_b32_e32 v9, 31
	v_mov_b32_e32 v10, 0x7fc00000
	v_mov_b32_e32 v11, 0x41a00000
	;; [unrolled: 1-line block ×5, first 2 shown]
	s_branch .LBB0_4
.LBB0_3:                                ;   in Loop: Header=BB0_4 Depth=1
	s_or_b64 exec, exec, s[0:1]
	v_mul_f32_e32 v2, v17, v17
	v_mov_b32_e32 v22, 0x3c0881c4
	v_fmac_f32_e32 v22, 0xb94c1982, v2
	v_fma_f32 v22, v2, v22, v5
	v_mul_f32_e32 v22, v2, v22
	v_fmac_f32_e32 v17, v17, v22
	v_mov_b32_e32 v22, 0xbab64f3b
	v_fmac_f32_e32 v22, 0x37d75334, v2
	v_fma_f32 v22, v2, v22, v6
	v_fma_f32 v22, v2, v22, v7
	v_fma_f32 v2, v2, v22, 1.0
	v_and_b32_e32 v22, 1, v16
	v_lshlrev_b32_e32 v16, 30, v16
	v_cmp_eq_u32_e32 vcc, 0, v22
	v_and_b32_e32 v16, 0x80000000, v16
	v_xor_b32_e32 v15, v15, v14
	v_cndmask_b32_e32 v2, v2, v17, vcc
	v_xor_b32_e32 v15, v15, v16
	v_xor_b32_e32 v2, v15, v2
	v_cmp_class_f32_e64 vcc, v14, s25
	v_mul_f32_e32 v14, v21, v21
	v_mov_b32_e32 v15, 0x3c0881c4
	v_fmac_f32_e32 v15, 0xb94c1982, v14
	v_fma_f32 v15, v14, v15, v5
	v_mul_f32_e32 v15, v14, v15
	v_fmac_f32_e32 v21, v21, v15
	v_mov_b32_e32 v15, 0xbab64f3b
	v_fmac_f32_e32 v15, 0x37d75334, v14
	v_fma_f32 v15, v14, v15, v6
	v_fma_f32 v15, v14, v15, v7
	v_fma_f32 v14, v14, v15, 1.0
	v_and_b32_e32 v15, 1, v20
	v_cndmask_b32_e32 v2, v10, v2, vcc
	v_cmp_eq_u32_e32 vcc, 0, v15
	v_lshlrev_b32_e32 v15, 30, v20
	v_and_b32_e32 v15, 0x80000000, v15
	v_xor_b32_e32 v16, v19, v18
	v_cndmask_b32_e32 v14, v14, v21, vcc
	v_xor_b32_e32 v15, v16, v15
	v_xor_b32_e32 v14, v15, v14
	v_cmp_class_f32_e64 vcc, v18, s25
	v_cndmask_b32_e32 v14, v10, v14, vcc
	v_cmp_eq_f32_e32 vcc, 1.0, v14
	v_frexp_mant_f32_e64 v16, |v14|
	v_cndmask_b32_e64 v15, v11, 1.0, vcc
	v_cmp_gt_f32_e32 vcc, s26, v16
	v_cndmask_b32_e64 v17, 1.0, 2.0, vcc
	v_mul_f32_e32 v16, v16, v17
	v_add_f32_e32 v17, 1.0, v16
	v_rcp_f32_e32 v18, v17
	v_add_f32_e32 v19, -1.0, v16
	v_add_f32_e32 v20, -1.0, v17
	v_sub_f32_e32 v16, v16, v20
	v_mul_f32_e32 v20, v19, v18
	v_mul_f32_e32 v21, v17, v20
	v_fma_f32 v17, v20, v17, -v21
	v_fmac_f32_e32 v17, v20, v16
	v_add_f32_e32 v16, v21, v17
	v_sub_f32_e32 v22, v19, v16
	v_sub_f32_e32 v21, v16, v21
	v_sub_f32_e32 v19, v19, v22
	v_sub_f32_e32 v16, v19, v16
	v_sub_f32_e32 v17, v21, v17
	v_add_f32_e32 v16, v17, v16
	v_add_f32_e32 v16, v22, v16
	v_mul_f32_e32 v16, v18, v16
	v_add_f32_e32 v18, v20, v16
	v_sub_f32_e32 v17, v18, v20
	v_sub_f32_e32 v19, v16, v17
	v_mul_f32_e32 v16, v18, v18
	v_fma_f32 v17, v18, v18, -v16
	v_add_f32_e32 v20, v19, v19
	v_fmac_f32_e32 v17, v18, v20
	v_add_f32_e32 v20, v16, v17
	v_mov_b32_e32 v21, 0x3e91f4c4
	v_sub_f32_e32 v16, v20, v16
	v_fmac_f32_e32 v21, 0x3e76c4e1, v20
	v_mov_b32_e32 v22, 0x3ecccdef
	v_sub_f32_e32 v16, v17, v16
	v_mul_f32_e32 v17, v18, v20
	v_fma_f32 v21, v20, v21, v22
	v_fma_f32 v22, v20, v18, -v17
	v_fmac_f32_e32 v22, v20, v19
	v_fmac_f32_e32 v22, v16, v18
	v_add_f32_e32 v23, v17, v22
	v_sub_f32_e32 v17, v23, v17
	v_sub_f32_e32 v22, v22, v17
	v_mul_f32_e32 v17, v20, v21
	v_fma_f32 v20, v20, v21, -v17
	v_fmac_f32_e32 v20, v16, v21
	v_add_f32_e32 v21, v17, v20
	v_sub_f32_e32 v25, v21, v17
	v_cvt_f64_f32_e64 v[16:17], |v14|
	v_add_f32_e32 v24, 0x3f2aaaaa, v21
	v_sub_f32_e32 v20, v20, v25
	v_add_f32_e32 v25, 0xbf2aaaaa, v24
	v_frexp_exp_i32_f64_e32 v16, v[16:17]
	v_add_f32_e32 v20, 0x31739010, v20
	v_sub_f32_e32 v17, v21, v25
	v_add_f32_e32 v17, v20, v17
	v_add_f32_e32 v20, v24, v17
	v_sub_f32_e32 v21, v24, v20
	v_add_f32_e32 v17, v17, v21
	v_mul_f32_e32 v21, v23, v20
	v_subbrev_co_u32_e32 v16, vcc, 0, v16, vcc
	v_cvt_f32_i32_e32 v16, v16
	v_fma_f32 v24, v23, v20, -v21
	v_fmac_f32_e32 v24, v23, v17
	v_fmac_f32_e32 v24, v22, v20
	v_mul_f32_e32 v17, 0x3f317218, v16
	v_fma_f32 v20, v16, s27, -v17
	v_fmac_f32_e32 v20, 0xb102e308, v16
	v_ldexp_f32 v16, v19, 1
	v_add_f32_e32 v19, v17, v20
	v_sub_f32_e32 v17, v19, v17
	v_ldexp_f32 v18, v18, 1
	v_sub_f32_e32 v17, v20, v17
	v_add_f32_e32 v20, v21, v24
	v_sub_f32_e32 v21, v20, v21
	v_add_f32_e32 v22, v18, v20
	v_sub_f32_e32 v21, v24, v21
	v_sub_f32_e32 v18, v22, v18
	;; [unrolled: 1-line block ×3, first 2 shown]
	v_add_f32_e32 v16, v16, v21
	v_add_f32_e32 v16, v16, v18
	;; [unrolled: 1-line block ×3, first 2 shown]
	v_sub_f32_e32 v20, v18, v22
	v_sub_f32_e32 v16, v16, v20
	v_add_f32_e32 v20, v19, v18
	v_sub_f32_e32 v21, v20, v19
	v_sub_f32_e32 v22, v20, v21
	;; [unrolled: 1-line block ×4, first 2 shown]
	v_add_f32_e32 v18, v18, v19
	v_add_f32_e32 v19, v17, v16
	v_sub_f32_e32 v21, v19, v17
	v_sub_f32_e32 v22, v19, v21
	;; [unrolled: 1-line block ×4, first 2 shown]
	v_add_f32_e32 v16, v16, v17
	v_add_f32_e32 v17, v19, v18
	;; [unrolled: 1-line block ×3, first 2 shown]
	v_sub_f32_e32 v19, v18, v20
	v_sub_f32_e32 v17, v17, v19
	v_add_f32_e32 v16, v16, v17
	v_add_f32_e32 v17, v18, v16
	v_sub_f32_e32 v18, v17, v18
	v_sub_f32_e32 v16, v16, v18
	v_mul_f32_e32 v18, v15, v17
	v_fma_f32 v17, v15, v17, -v18
	v_fmac_f32_e32 v17, v15, v16
	v_add_f32_e32 v16, v18, v17
	v_cmp_class_f32_e64 vcc, v18, s28
	v_sub_f32_e32 v19, v16, v18
	v_cndmask_b32_e32 v16, v16, v18, vcc
	v_cmp_eq_f32_e32 vcc, s30, v16
	v_cndmask_b32_e32 v18, 0, v12, vcc
	v_sub_f32_e32 v17, v17, v19
	v_sub_f32_e32 v19, v16, v18
	v_mul_f32_e32 v20, 0x3fb8aa3b, v19
	v_fma_f32 v21, v19, s31, -v20
	v_rndne_f32_e32 v22, v20
	v_fmac_f32_e32 v21, 0x32a5705f, v19
	v_sub_f32_e32 v20, v20, v22
	v_add_f32_e32 v20, v20, v21
	v_exp_f32_e32 v20, v20
	v_cvt_i32_f32_e32 v21, v22
	v_cmp_neq_f32_e64 vcc, |v16|, s29
	v_cndmask_b32_e32 v16, 0, v17, vcc
	v_cmp_ngt_f32_e32 vcc, s33, v19
	v_ldexp_f32 v17, v20, v21
	v_cndmask_b32_e32 v17, 0, v17, vcc
	v_cmp_nlt_f32_e32 vcc, s30, v19
	v_add_f32_e32 v16, v18, v16
	v_cndmask_b32_e32 v17, v13, v17, vcc
	v_fma_f32 v16, v17, v16, v17
	v_cmp_class_f32_e64 vcc, v17, s28
	v_cndmask_b32_e32 v16, v16, v17, vcc
	v_trunc_f32_e32 v17, v15
	v_cmp_eq_f32_e32 vcc, v17, v15
	v_mul_f32_e32 v15, 0.5, v15
	v_trunc_f32_e32 v17, v15
	v_cmp_neq_f32_e64 s[0:1], v17, v15
	s_and_b64 s[0:1], vcc, s[0:1]
	v_cndmask_b32_e64 v15, 1.0, v14, s[0:1]
	v_bfi_b32 v15, s9, v16, v15
	v_cndmask_b32_e32 v16, v10, v15, vcc
	v_cmp_gt_f32_e32 vcc, 0, v14
	v_cndmask_b32_e32 v15, v15, v16, vcc
	v_cmp_eq_f32_e32 vcc, 0, v14
	v_cmp_class_f32_e64 s[2:3], v14, s28
	v_cndmask_b32_e64 v16, v13, 0, vcc
	v_cndmask_b32_e64 v17, 0, v14, s[0:1]
	v_bfi_b32 v16, s9, v16, v17
	s_or_b64 vcc, vcc, s[2:3]
	v_cndmask_b32_e32 v15, v15, v16, vcc
	v_cmp_o_f32_e32 vcc, v14, v14
	v_cndmask_b32_e32 v14, v10, v15, vcc
	v_add_co_u32_e32 v0, vcc, 4, v0
	v_fmac_f32_e32 v4, v2, v14
	s_cmp_lg_u32 s12, s8
	v_addc_co_u32_e32 v1, vcc, 0, v1, vcc
	s_cbranch_scc0 .LBB0_12
.LBB0_4:                                ; =>This Inner Loop Header: Depth=1
	global_load_dword v14, v[0:1], off
                                        ; implicit-def: $vgpr16
                                        ; implicit-def: $vgpr17
	s_waitcnt vmcnt(0)
	v_and_b32_e32 v15, 0x7fffffff, v14
	v_cmp_nlt_f32_e64 s[0:1], |v14|, s13
	s_and_saveexec_b64 s[2:3], s[0:1]
	s_xor_b64 s[6:7], exec, s[2:3]
	s_cbranch_execz .LBB0_6
; %bb.5:                                ;   in Loop: Header=BB0_4 Depth=1
	v_and_b32_e32 v2, 0x7fffff, v15
	v_or_b32_e32 v23, 0x800000, v2
	v_mad_u64_u32 v[16:17], s[0:1], v23, s14, 0
	v_mov_b32_e32 v2, v17
	v_mad_u64_u32 v[17:18], s[0:1], v23, s15, v[2:3]
	v_mov_b32_e32 v2, v18
	v_mad_u64_u32 v[18:19], s[0:1], v23, s16, v[2:3]
	v_lshrrev_b32_e32 v2, 23, v15
	v_add_u32_e32 v21, 0xffffff88, v2
	v_mov_b32_e32 v2, v19
	v_mad_u64_u32 v[19:20], s[0:1], v23, s17, v[2:3]
	v_cmp_lt_u32_e32 vcc, 63, v21
	v_cndmask_b32_e32 v2, 0, v8, vcc
	v_add_u32_e32 v22, v2, v21
	v_mov_b32_e32 v2, v20
	v_mad_u64_u32 v[20:21], s[0:1], v23, s18, v[2:3]
	v_cmp_lt_u32_e64 s[0:1], 31, v22
	v_cndmask_b32_e64 v2, 0, v9, s[0:1]
	v_add_u32_e32 v24, v2, v22
	v_mov_b32_e32 v2, v21
	v_mad_u64_u32 v[21:22], s[2:3], v23, s19, v[2:3]
	v_cmp_lt_u32_e64 s[2:3], 31, v24
	v_cndmask_b32_e64 v2, 0, v9, s[2:3]
	v_add_u32_e32 v24, v2, v24
	v_mov_b32_e32 v2, v22
	v_mad_u64_u32 v[22:23], s[4:5], v23, s20, v[2:3]
	v_cndmask_b32_e32 v2, v21, v19, vcc
	v_cndmask_b32_e32 v17, v19, v17, vcc
	;; [unrolled: 1-line block ×5, first 2 shown]
	v_cndmask_b32_e64 v23, v22, v2, s[0:1]
	v_cndmask_b32_e64 v21, v21, v22, s[0:1]
	;; [unrolled: 1-line block ×5, first 2 shown]
	v_sub_u32_e32 v23, 32, v24
	v_cndmask_b32_e64 v19, v20, v17, s[0:1]
	v_alignbit_b32 v25, v21, v22, v23
	v_cmp_eq_u32_e64 s[4:5], 0, v24
	v_cndmask_b32_e64 v2, v2, v19, s[2:3]
	v_cndmask_b32_e64 v21, v25, v21, s[4:5]
	v_alignbit_b32 v20, v22, v2, v23
	v_cndmask_b32_e32 v16, v18, v16, vcc
	v_cndmask_b32_e64 v20, v20, v22, s[4:5]
	v_bfe_u32 v25, v21, 29, 1
	v_cndmask_b32_e64 v16, v17, v16, s[0:1]
	v_alignbit_b32 v22, v21, v20, 30
	v_sub_u32_e32 v26, 0, v25
	v_cndmask_b32_e64 v16, v19, v16, s[2:3]
	v_xor_b32_e32 v22, v22, v26
	v_alignbit_b32 v17, v2, v16, v23
	v_cndmask_b32_e64 v2, v17, v2, s[4:5]
	v_ffbh_u32_e32 v18, v22
	v_alignbit_b32 v17, v20, v2, 30
	v_min_u32_e32 v18, 32, v18
	v_alignbit_b32 v2, v2, v16, 30
	v_xor_b32_e32 v17, v17, v26
	v_sub_u32_e32 v19, 31, v18
	v_xor_b32_e32 v2, v2, v26
	v_alignbit_b32 v20, v22, v17, v19
	v_alignbit_b32 v2, v17, v2, v19
	;; [unrolled: 1-line block ×3, first 2 shown]
	v_ffbh_u32_e32 v17, v16
	v_min_u32_e32 v17, 32, v17
	v_lshrrev_b32_e32 v24, 29, v21
	v_not_b32_e32 v19, v17
	v_alignbit_b32 v2, v16, v2, v19
	v_lshlrev_b32_e32 v16, 31, v24
	v_or_b32_e32 v19, 0x33000000, v16
	v_add_lshl_u32 v17, v17, v18, 23
	v_lshrrev_b32_e32 v2, 9, v2
	v_sub_u32_e32 v17, v19, v17
	v_or_b32_e32 v16, 0.5, v16
	v_lshlrev_b32_e32 v18, 23, v18
	v_or_b32_e32 v2, v17, v2
	v_lshrrev_b32_e32 v17, 9, v20
	v_sub_u32_e32 v16, v16, v18
	v_or_b32_e32 v16, v17, v16
	v_mul_f32_e32 v17, 0x3fc90fda, v16
	v_fma_f32 v18, v16, s21, -v17
	v_fmac_f32_e32 v18, 0x33a22168, v16
	v_fmac_f32_e32 v18, 0x3fc90fda, v2
	v_lshrrev_b32_e32 v2, 30, v21
	v_add_f32_e32 v17, v17, v18
	v_add_u32_e32 v16, v25, v2
.LBB0_6:                                ;   in Loop: Header=BB0_4 Depth=1
	s_andn2_saveexec_b64 s[0:1], s[6:7]
; %bb.7:                                ;   in Loop: Header=BB0_4 Depth=1
	v_mul_f32_e64 v2, |v14|, s22
	v_rndne_f32_e32 v2, v2
	v_cvt_i32_f32_e32 v16, v2
	v_fma_f32 v17, v2, s23, |v14|
	v_fmac_f32_e32 v17, 0xb3a22168, v2
	v_fmac_f32_e32 v17, 0xa7c234c4, v2
; %bb.8:                                ;   in Loop: Header=BB0_4 Depth=1
	s_or_b64 exec, exec, s[0:1]
	s_add_i32 s8, s8, 1
	v_cvt_f32_u32_e32 v2, s8
	v_mul_f32_e32 v2, v14, v2
	v_mul_f32_e32 v2, v14, v2
	v_div_scale_f32 v18, s[0:1], s24, s24, v2
	v_div_scale_f32 v19, vcc, v2, s24, v2
	v_rcp_f32_e32 v20, v18
	v_fma_f32 v21, -v18, v20, 1.0
	v_fmac_f32_e32 v20, v21, v20
	v_mul_f32_e32 v21, v19, v20
	v_fma_f32 v22, -v18, v21, v19
	v_fmac_f32_e32 v21, v22, v20
	v_fma_f32 v18, -v18, v21, v19
	v_div_fmas_f32 v18, v18, v20, v21
                                        ; implicit-def: $vgpr20
                                        ; implicit-def: $vgpr21
	v_div_fixup_f32 v18, v18, s24, v2
	v_and_b32_e32 v19, 0x7fffffff, v18
	v_cmp_nlt_f32_e64 s[0:1], |v18|, s13
	s_and_saveexec_b64 s[2:3], s[0:1]
	s_xor_b64 s[6:7], exec, s[2:3]
	s_cbranch_execz .LBB0_10
; %bb.9:                                ;   in Loop: Header=BB0_4 Depth=1
	v_and_b32_e32 v2, 0x7fffff, v19
	v_or_b32_e32 v27, 0x800000, v2
	v_mad_u64_u32 v[20:21], s[0:1], v27, s14, 0
	v_mov_b32_e32 v2, v21
	v_mad_u64_u32 v[21:22], s[0:1], v27, s15, v[2:3]
	v_mov_b32_e32 v2, v22
	v_mad_u64_u32 v[22:23], s[0:1], v27, s16, v[2:3]
	v_mov_b32_e32 v2, v23
	v_mad_u64_u32 v[23:24], s[0:1], v27, s17, v[2:3]
	v_lshrrev_b32_e32 v2, 23, v19
	v_add_u32_e32 v26, 0xffffff88, v2
	v_mov_b32_e32 v2, v24
	v_mad_u64_u32 v[24:25], s[0:1], v27, s18, v[2:3]
	v_cmp_lt_u32_e32 vcc, 63, v26
	v_cndmask_b32_e32 v2, 0, v8, vcc
	v_add_u32_e32 v28, v2, v26
	v_mov_b32_e32 v2, v25
	v_mad_u64_u32 v[25:26], s[0:1], v27, s19, v[2:3]
	v_cmp_lt_u32_e64 s[0:1], 31, v28
	v_cndmask_b32_e64 v2, 0, v9, s[0:1]
	v_add_u32_e32 v28, v2, v28
	v_mov_b32_e32 v2, v26
	v_mad_u64_u32 v[26:27], s[2:3], v27, s20, v[2:3]
	v_cmp_lt_u32_e64 s[2:3], 31, v28
	v_cndmask_b32_e64 v2, 0, v9, s[2:3]
	v_add_u32_e32 v2, v2, v28
	v_cndmask_b32_e32 v28, v25, v23, vcc
	v_cndmask_b32_e32 v25, v27, v25, vcc
	;; [unrolled: 1-line block ×4, first 2 shown]
	v_cndmask_b32_e64 v27, v26, v28, s[0:1]
	v_cndmask_b32_e64 v25, v25, v26, s[0:1]
	;; [unrolled: 1-line block ×3, first 2 shown]
	v_cndmask_b32_e32 v21, v23, v21, vcc
	v_cndmask_b32_e64 v25, v25, v27, s[2:3]
	v_cndmask_b32_e64 v27, v27, v26, s[2:3]
	v_sub_u32_e32 v28, 32, v2
	v_cndmask_b32_e64 v23, v24, v21, s[0:1]
	v_alignbit_b32 v29, v25, v27, v28
	v_cmp_eq_u32_e64 s[4:5], 0, v2
	v_cndmask_b32_e64 v24, v26, v23, s[2:3]
	v_cndmask_b32_e64 v2, v29, v25, s[4:5]
	v_alignbit_b32 v25, v27, v24, v28
	v_cndmask_b32_e32 v20, v22, v20, vcc
	v_cndmask_b32_e64 v25, v25, v27, s[4:5]
	v_bfe_u32 v29, v2, 29, 1
	v_cndmask_b32_e64 v20, v21, v20, s[0:1]
	v_alignbit_b32 v26, v2, v25, 30
	v_sub_u32_e32 v30, 0, v29
	v_cndmask_b32_e64 v20, v23, v20, s[2:3]
	v_xor_b32_e32 v26, v26, v30
	v_alignbit_b32 v21, v24, v20, v28
	v_cndmask_b32_e64 v21, v21, v24, s[4:5]
	v_ffbh_u32_e32 v23, v26
	v_alignbit_b32 v22, v25, v21, 30
	v_min_u32_e32 v23, 32, v23
	v_alignbit_b32 v20, v21, v20, 30
	v_xor_b32_e32 v22, v22, v30
	v_sub_u32_e32 v24, 31, v23
	v_xor_b32_e32 v20, v20, v30
	v_alignbit_b32 v25, v26, v22, v24
	v_alignbit_b32 v20, v22, v20, v24
	;; [unrolled: 1-line block ×3, first 2 shown]
	v_ffbh_u32_e32 v22, v21
	v_min_u32_e32 v22, 32, v22
	v_lshrrev_b32_e32 v27, 29, v2
	v_not_b32_e32 v24, v22
	v_alignbit_b32 v20, v21, v20, v24
	v_lshlrev_b32_e32 v21, 31, v27
	v_or_b32_e32 v24, 0x33000000, v21
	v_add_lshl_u32 v22, v22, v23, 23
	v_lshrrev_b32_e32 v20, 9, v20
	v_sub_u32_e32 v22, v24, v22
	v_or_b32_e32 v21, 0.5, v21
	v_lshlrev_b32_e32 v23, 23, v23
	v_or_b32_e32 v20, v22, v20
	v_lshrrev_b32_e32 v22, 9, v25
	v_sub_u32_e32 v21, v21, v23
	v_or_b32_e32 v21, v22, v21
	v_mul_f32_e32 v22, 0x3fc90fda, v21
	v_fma_f32 v23, v21, s21, -v22
	v_fmac_f32_e32 v23, 0x33a22168, v21
	v_fmac_f32_e32 v23, 0x3fc90fda, v20
	v_lshrrev_b32_e32 v2, 30, v2
	v_add_f32_e32 v21, v22, v23
	v_add_u32_e32 v20, v29, v2
.LBB0_10:                               ;   in Loop: Header=BB0_4 Depth=1
	s_andn2_saveexec_b64 s[0:1], s[6:7]
	s_cbranch_execz .LBB0_3
; %bb.11:                               ;   in Loop: Header=BB0_4 Depth=1
	v_mul_f32_e64 v2, |v18|, s22
	v_rndne_f32_e32 v2, v2
	v_cvt_i32_f32_e32 v20, v2
	v_fma_f32 v21, v2, s23, |v18|
	v_fmac_f32_e32 v21, 0xb3a22168, v2
	v_fmac_f32_e32 v21, 0xa7c234c4, v2
	s_branch .LBB0_3
.LBB0_12:
	s_mov_b64 s[0:1], exec
	v_mov_b32_e32 v0, 0x7fc00000
	v_xor_b32_e32 v1, 0x80000000, v4
.LBB0_13:                               ; =>This Inner Loop Header: Depth=1
	s_ff1_i32_b64 s2, s[0:1]
	v_readlane_b32 s4, v1, s2
	s_lshl_b64 s[2:3], 1, s2
	v_max_f32_e32 v0, v0, v0
	v_max_f32_e64 v2, s4, s4
	s_andn2_b64 s[0:1], s[0:1], s[2:3]
	s_cmp_lg_u64 s[0:1], 0
	v_min_f32_e32 v0, v0, v2
	s_cbranch_scc1 .LBB0_13
; %bb.14:
	v_mbcnt_lo_u32_b32 v1, exec_lo, 0
	v_mbcnt_hi_u32_b32 v1, exec_hi, v1
	v_cmp_eq_u32_e32 vcc, 0, v1
	s_and_saveexec_b64 s[0:1], vcc
	s_xor_b64 s[0:1], exec, s[0:1]
	s_cbranch_execz .LBB0_17
; %bb.15:
	s_load_dword s2, s[10:11], 0x0
	s_mov_b64 s[0:1], 0
	v_max_f32_e32 v2, v0, v0
	v_mov_b32_e32 v3, 0
	s_waitcnt lgkmcnt(0)
	v_mov_b32_e32 v1, s2
.LBB0_16:                               ; =>This Inner Loop Header: Depth=1
	v_max_f32_e32 v0, v1, v1
	v_min_f32_e32 v0, v0, v2
	global_atomic_cmpswap v0, v3, v[0:1], s[10:11] glc
	s_waitcnt vmcnt(0)
	v_cmp_eq_u32_e32 vcc, v0, v1
	s_or_b64 s[0:1], vcc, s[0:1]
	v_mov_b32_e32 v1, v0
	s_andn2_b64 exec, exec, s[0:1]
	s_cbranch_execnz .LBB0_16
.LBB0_17:
	s_endpgm
	.section	.rodata,"a",@progbits
	.p2align	6, 0x0
	.amdhsa_kernel _Z4evalPKfPfmi
		.amdhsa_group_segment_fixed_size 0
		.amdhsa_private_segment_fixed_size 0
		.amdhsa_kernarg_size 288
		.amdhsa_user_sgpr_count 6
		.amdhsa_user_sgpr_private_segment_buffer 1
		.amdhsa_user_sgpr_dispatch_ptr 0
		.amdhsa_user_sgpr_queue_ptr 0
		.amdhsa_user_sgpr_kernarg_segment_ptr 1
		.amdhsa_user_sgpr_dispatch_id 0
		.amdhsa_user_sgpr_flat_scratch_init 0
		.amdhsa_user_sgpr_private_segment_size 0
		.amdhsa_uses_dynamic_stack 0
		.amdhsa_system_sgpr_private_segment_wavefront_offset 0
		.amdhsa_system_sgpr_workgroup_id_x 1
		.amdhsa_system_sgpr_workgroup_id_y 0
		.amdhsa_system_sgpr_workgroup_id_z 0
		.amdhsa_system_sgpr_workgroup_info 0
		.amdhsa_system_vgpr_workitem_id 0
		.amdhsa_next_free_vgpr 31
		.amdhsa_next_free_sgpr 34
		.amdhsa_reserve_vcc 1
		.amdhsa_reserve_flat_scratch 0
		.amdhsa_float_round_mode_32 0
		.amdhsa_float_round_mode_16_64 0
		.amdhsa_float_denorm_mode_32 3
		.amdhsa_float_denorm_mode_16_64 3
		.amdhsa_dx10_clamp 1
		.amdhsa_ieee_mode 1
		.amdhsa_fp16_overflow 0
		.amdhsa_exception_fp_ieee_invalid_op 0
		.amdhsa_exception_fp_denorm_src 0
		.amdhsa_exception_fp_ieee_div_zero 0
		.amdhsa_exception_fp_ieee_overflow 0
		.amdhsa_exception_fp_ieee_underflow 0
		.amdhsa_exception_fp_ieee_inexact 0
		.amdhsa_exception_int_div_zero 0
	.end_amdhsa_kernel
	.text
.Lfunc_end0:
	.size	_Z4evalPKfPfmi, .Lfunc_end0-_Z4evalPKfPfmi
                                        ; -- End function
	.set _Z4evalPKfPfmi.num_vgpr, 31
	.set _Z4evalPKfPfmi.num_agpr, 0
	.set _Z4evalPKfPfmi.numbered_sgpr, 34
	.set _Z4evalPKfPfmi.num_named_barrier, 0
	.set _Z4evalPKfPfmi.private_seg_size, 0
	.set _Z4evalPKfPfmi.uses_vcc, 1
	.set _Z4evalPKfPfmi.uses_flat_scratch, 0
	.set _Z4evalPKfPfmi.has_dyn_sized_stack, 0
	.set _Z4evalPKfPfmi.has_recursion, 0
	.set _Z4evalPKfPfmi.has_indirect_call, 0
	.section	.AMDGPU.csdata,"",@progbits
; Kernel info:
; codeLenInByte = 2860
; TotalNumSgprs: 38
; NumVgprs: 31
; ScratchSize: 0
; MemoryBound: 0
; FloatMode: 240
; IeeeMode: 1
; LDSByteSize: 0 bytes/workgroup (compile time only)
; SGPRBlocks: 4
; VGPRBlocks: 7
; NumSGPRsForWavesPerEU: 38
; NumVGPRsForWavesPerEU: 31
; Occupancy: 8
; WaveLimiterHint : 0
; COMPUTE_PGM_RSRC2:SCRATCH_EN: 0
; COMPUTE_PGM_RSRC2:USER_SGPR: 6
; COMPUTE_PGM_RSRC2:TRAP_HANDLER: 0
; COMPUTE_PGM_RSRC2:TGID_X_EN: 1
; COMPUTE_PGM_RSRC2:TGID_Y_EN: 0
; COMPUTE_PGM_RSRC2:TGID_Z_EN: 0
; COMPUTE_PGM_RSRC2:TIDIG_COMP_CNT: 0
	.section	.AMDGPU.gpr_maximums,"",@progbits
	.set amdgpu.max_num_vgpr, 0
	.set amdgpu.max_num_agpr, 0
	.set amdgpu.max_num_sgpr, 0
	.section	.AMDGPU.csdata,"",@progbits
	.type	__hip_cuid_74ce1a94683f9751,@object ; @__hip_cuid_74ce1a94683f9751
	.section	.bss,"aw",@nobits
	.globl	__hip_cuid_74ce1a94683f9751
__hip_cuid_74ce1a94683f9751:
	.byte	0                               ; 0x0
	.size	__hip_cuid_74ce1a94683f9751, 1

	.ident	"AMD clang version 22.0.0git (https://github.com/RadeonOpenCompute/llvm-project roc-7.2.4 26084 f58b06dce1f9c15707c5f808fd002e18c2accf7e)"
	.section	".note.GNU-stack","",@progbits
	.addrsig
	.addrsig_sym __hip_cuid_74ce1a94683f9751
	.amdgpu_metadata
---
amdhsa.kernels:
  - .args:
      - .address_space:  global
        .offset:         0
        .size:           8
        .value_kind:     global_buffer
      - .address_space:  global
        .offset:         8
        .size:           8
        .value_kind:     global_buffer
      - .offset:         16
        .size:           8
        .value_kind:     by_value
      - .offset:         24
        .size:           4
        .value_kind:     by_value
      - .offset:         32
        .size:           4
        .value_kind:     hidden_block_count_x
      - .offset:         36
        .size:           4
        .value_kind:     hidden_block_count_y
      - .offset:         40
        .size:           4
        .value_kind:     hidden_block_count_z
      - .offset:         44
        .size:           2
        .value_kind:     hidden_group_size_x
      - .offset:         46
        .size:           2
        .value_kind:     hidden_group_size_y
      - .offset:         48
        .size:           2
        .value_kind:     hidden_group_size_z
      - .offset:         50
        .size:           2
        .value_kind:     hidden_remainder_x
      - .offset:         52
        .size:           2
        .value_kind:     hidden_remainder_y
      - .offset:         54
        .size:           2
        .value_kind:     hidden_remainder_z
      - .offset:         72
        .size:           8
        .value_kind:     hidden_global_offset_x
      - .offset:         80
        .size:           8
        .value_kind:     hidden_global_offset_y
      - .offset:         88
        .size:           8
        .value_kind:     hidden_global_offset_z
      - .offset:         96
        .size:           2
        .value_kind:     hidden_grid_dims
    .group_segment_fixed_size: 0
    .kernarg_segment_align: 8
    .kernarg_segment_size: 288
    .language:       OpenCL C
    .language_version:
      - 2
      - 0
    .max_flat_workgroup_size: 1024
    .name:           _Z4evalPKfPfmi
    .private_segment_fixed_size: 0
    .sgpr_count:     38
    .sgpr_spill_count: 0
    .symbol:         _Z4evalPKfPfmi.kd
    .uniform_work_group_size: 1
    .uses_dynamic_stack: false
    .vgpr_count:     31
    .vgpr_spill_count: 0
    .wavefront_size: 64
amdhsa.target:   amdgcn-amd-amdhsa--gfx906
amdhsa.version:
  - 1
  - 2
...

	.end_amdgpu_metadata
